;; amdgpu-corpus repo=zjin-lcf/HeCBench kind=compiled arch=gfx906 opt=O3
	.amdgcn_target "amdgcn-amd-amdhsa--gfx906"
	.amdhsa_code_object_version 6
	.text
	.protected	_Z8d2q9_bgkPKfS0_S0_S0_S0_S0_S0_S0_S0_PfS1_S1_S1_S1_S1_S1_S1_S1_PKiS1_Piffiii ; -- Begin function _Z8d2q9_bgkPKfS0_S0_S0_S0_S0_S0_S0_S0_PfS1_S1_S1_S1_S1_S1_S1_S1_PKiS1_Piffiii
	.globl	_Z8d2q9_bgkPKfS0_S0_S0_S0_S0_S0_S0_S0_PfS1_S1_S1_S1_S1_S1_S1_S1_PKiS1_Piffiii
	.p2align	8
	.type	_Z8d2q9_bgkPKfS0_S0_S0_S0_S0_S0_S0_S0_PfS1_S1_S1_S1_S1_S1_S1_S1_PKiS1_Piffiii,@function
_Z8d2q9_bgkPKfS0_S0_S0_S0_S0_S0_S0_S0_PfS1_S1_S1_S1_S1_S1_S1_S1_PKiS1_Piffiii: ; @_Z8d2q9_bgkPKfS0_S0_S0_S0_S0_S0_S0_S0_PfS1_S1_S1_S1_S1_S1_S1_S1_PKiS1_Piffiii
; %bb.0:
	s_load_dword s2, s[4:5], 0xcc
	s_load_dwordx4 s[24:27], s[4:5], 0xa8
	s_load_dwordx2 s[0:1], s[4:5], 0x0
	s_load_dwordx2 s[10:11], s[4:5], 0x18
	v_mov_b32_e32 v9, 0x3de38e39
	s_waitcnt lgkmcnt(0)
	s_lshr_b32 s33, s2, 16
	s_mul_i32 s3, s7, s33
	v_add_u32_e32 v13, s3, v1
	v_mul_lo_u32 v20, v13, s26
	s_and_b32 s42, s2, 0xffff
	s_mul_i32 s2, s6, s42
	v_add_u32_e32 v16, s2, v0
	v_add_u32_e32 v2, v20, v16
	v_ashrrev_i32_e32 v3, 31, v2
	v_lshlrev_b64 v[2:3], 2, v[2:3]
	v_mov_b32_e32 v5, s1
	v_add_co_u32_e32 v4, vcc, s0, v2
	v_addc_co_u32_e32 v5, vcc, v5, v3, vcc
	global_load_dword v10, v[4:5], off
	s_abs_i32 s45, s26
	v_cvt_f32_u32_e32 v4, s45
	s_abs_i32 s44, s27
	v_cvt_f32_u32_e32 v5, s44
	s_sub_i32 s0, 0, s45
	v_rcp_iflag_f32_e32 v4, v4
	s_load_dwordx2 s[30:31], s[4:5], 0x90
	s_load_dwordx4 s[12:15], s[4:5], 0x30
	v_rcp_iflag_f32_e32 v5, v5
	v_add_u32_e32 v17, 1, v16
	v_mul_f32_e32 v4, 0x4f7ffffe, v4
	v_cvt_u32_f32_e32 v6, v4
	v_mul_f32_e32 v4, 0x4f7ffffe, v5
	v_cvt_u32_f32_e32 v11, v4
	v_sub_u32_e32 v7, 0, v17
	v_mul_lo_u32 v5, s0, v6
	s_sub_i32 s0, 0, s44
	v_mul_lo_u32 v4, s0, v11
	v_cmp_eq_u32_e32 vcc, 0, v16
	v_mul_hi_u32 v5, v6, v5
	s_add_i32 s43, s27, -2
	v_mov_b32_e32 v8, 0x3ce38e39
	v_add_u32_e32 v19, 1, v13
	v_add_u32_e32 v5, v6, v5
	v_mov_b32_e32 v6, s26
	v_max_i32_e32 v18, v17, v7
	v_cndmask_b32_e32 v14, v16, v6, vcc
	v_cmp_eq_u32_e32 vcc, s43, v13
	v_cmp_ne_u32_e64 s[0:1], s43, v13
	s_mov_b64 s[2:3], 0
	s_mov_b64 s[18:19], 0
                                        ; implicit-def: $vgpr6_vgpr7
	s_and_saveexec_b64 s[8:9], s[0:1]
	s_xor_b64 s[8:9], exec, s[8:9]
; %bb.1:
	v_ashrrev_i32_e32 v7, 31, v20
	v_ashrrev_i32_e32 v12, 31, v14
	v_add_co_u32_e64 v6, s[0:1], v14, v20
	s_mov_b64 s[18:19], exec
	v_addc_co_u32_e64 v7, s[0:1], v12, v7, s[0:1]
; %bb.2:
	s_or_saveexec_b64 s[20:21], s[8:9]
	s_load_dwordx2 s[16:17], s[4:5], 0x8
	s_load_dwordx2 s[28:29], s[4:5], 0xc0
	v_mul_hi_u32 v22, v11, v4
	v_mad_u64_u32 v[4:5], s[0:1], v18, v5, 0
	v_sub_u32_e32 v21, 0, v19
	v_mul_f32_e32 v15, s24, v9
	v_mul_f32_e32 v12, s24, v8
	s_xor_b64 exec, exec, s[20:21]
	s_cbranch_execz .LBB0_10
; %bb.3:
	v_ashrrev_i32_e32 v4, 31, v20
	v_ashrrev_i32_e32 v7, 31, v14
	v_add_co_u32_e64 v6, s[0:1], v14, v20
	v_addc_co_u32_e64 v7, s[0:1], v7, v4, s[0:1]
	v_lshlrev_b64 v[8:9], 2, v[6:7]
	s_waitcnt lgkmcnt(0)
	v_mov_b32_e32 v4, s31
	v_add_co_u32_e64 v23, s[0:1], s30, v8
	v_addc_co_u32_e64 v24, s[0:1], v4, v9, s[0:1]
	global_load_dword v4, v[23:24], off offset:-4
	s_mov_b64 s[8:9], 0
	s_waitcnt vmcnt(0)
	v_cmp_ne_u32_e64 s[0:1], 0, v4
	v_cmp_eq_u32_e64 s[2:3], 0, v4
	s_and_saveexec_b64 s[22:23], s[2:3]
	s_cbranch_execz .LBB0_9
; %bb.4:
	v_mov_b32_e32 v4, s11
	v_add_co_u32_e64 v23, s[2:3], s10, v8
	v_addc_co_u32_e64 v24, s[2:3], v4, v9, s[2:3]
	global_load_dword v4, v[23:24], off offset:-4
	s_mov_b64 s[38:39], 0
	s_waitcnt vmcnt(0)
	v_cmp_ngt_f32_e64 s[2:3], v4, v15
	v_cmp_gt_f32_e64 s[8:9], v4, v15
	s_and_saveexec_b64 s[34:35], s[8:9]
	s_cbranch_execz .LBB0_8
; %bb.5:
	v_mov_b32_e32 v4, s13
	v_add_co_u32_e64 v23, s[8:9], s12, v8
	v_addc_co_u32_e64 v24, s[8:9], v4, v9, s[8:9]
	global_load_dword v4, v[23:24], off offset:-4
	s_waitcnt vmcnt(0)
	v_cmp_ngt_f32_e64 s[36:37], v4, v12
	v_cmp_gt_f32_e64 s[8:9], v4, v12
	s_and_saveexec_b64 s[40:41], s[8:9]
	s_cbranch_execz .LBB0_7
; %bb.6:
	v_mov_b32_e32 v4, s15
	v_add_co_u32_e64 v8, s[8:9], s14, v8
	v_addc_co_u32_e64 v9, s[8:9], v4, v9, s[8:9]
	global_load_dword v4, v[8:9], off offset:-4
	s_andn2_b64 s[36:37], s[36:37], exec
	s_mov_b64 s[38:39], exec
	s_waitcnt vmcnt(0)
	v_cmp_ngt_f32_e64 s[8:9], v4, v12
	s_and_b64 s[8:9], s[8:9], exec
	s_or_b64 s[36:37], s[36:37], s[8:9]
.LBB0_7:
	s_or_b64 exec, exec, s[40:41]
	s_andn2_b64 s[2:3], s[2:3], exec
	s_and_b64 s[8:9], s[36:37], exec
	s_and_b64 s[38:39], s[38:39], exec
	s_or_b64 s[2:3], s[2:3], s[8:9]
.LBB0_8:
	s_or_b64 exec, exec, s[34:35]
	s_andn2_b64 s[0:1], s[0:1], exec
	s_and_b64 s[2:3], s[2:3], exec
	s_and_b64 s[8:9], s[38:39], exec
	s_or_b64 s[0:1], s[0:1], s[2:3]
.LBB0_9:
	s_or_b64 exec, exec, s[22:23]
	s_and_b64 s[2:3], s[8:9], exec
	s_andn2_b64 s[8:9], s[18:19], exec
	s_and_b64 s[0:1], s[0:1], exec
	s_or_b64 s[18:19], s[8:9], s[0:1]
.LBB0_10:
	s_or_b64 exec, exec, s[20:21]
	s_load_dwordx2 s[8:9], s[4:5], 0x10
	v_max_i32_e32 v21, v19, v21
	v_add_u32_e32 v4, v11, v22
                                        ; implicit-def: $vgpr11
	s_and_saveexec_b64 s[20:21], s[18:19]
	s_cbranch_execz .LBB0_12
; %bb.11:
	v_lshlrev_b64 v[8:9], 2, v[6:7]
	s_waitcnt lgkmcnt(0)
	v_mov_b32_e32 v11, s17
	v_add_co_u32_e64 v8, s[0:1], s16, v8
	v_addc_co_u32_e64 v9, s[0:1], v11, v9, s[0:1]
	global_load_dword v11, v[8:9], off offset:-4
	s_andn2_b64 s[2:3], s[2:3], exec
.LBB0_12:
	s_or_b64 exec, exec, s[20:21]
	v_mad_u64_u32 v[8:9], s[0:1], v21, v4, 0
	v_ashrrev_i32_e32 v4, 31, v17
	s_and_saveexec_b64 s[18:19], s[2:3]
	s_cbranch_execz .LBB0_14
; %bb.13:
	v_lshlrev_b64 v[6:7], 2, v[6:7]
	s_waitcnt lgkmcnt(0)
	v_mov_b32_e32 v8, s17
	v_add_co_u32_e64 v6, s[0:1], s16, v6
	v_addc_co_u32_e64 v7, s[0:1], v8, v7, s[0:1]
	global_load_dword v6, v[6:7], off offset:-4
	s_waitcnt vmcnt(0)
	v_add_f32_e32 v11, v15, v6
.LBB0_14:
	s_or_b64 exec, exec, s[18:19]
	v_mov_b32_e32 v6, s27
	v_cmp_eq_u32_e64 s[0:1], 0, v13
	v_cndmask_b32_e64 v6, v13, v6, s[0:1]
	v_add_u32_e32 v22, -1, v6
	v_mul_lo_u32 v17, v22, s26
	s_waitcnt lgkmcnt(0)
	v_mov_b32_e32 v8, s9
	v_mul_lo_u32 v5, v5, s45
	s_load_dwordx2 s[2:3], s[4:5], 0x20
	v_add_u32_e32 v6, v17, v16
	v_ashrrev_i32_e32 v7, 31, v6
	v_lshlrev_b64 v[6:7], 2, v[6:7]
	v_sub_u32_e32 v5, v18, v5
	v_add_co_u32_e64 v6, s[0:1], s8, v6
	v_addc_co_u32_e64 v7, s[0:1], v8, v7, s[0:1]
	global_load_dword v13, v[6:7], off
	v_subrev_u32_e32 v6, s45, v5
	v_cmp_le_u32_e64 s[0:1], s45, v5
	v_cndmask_b32_e64 v5, v5, v6, s[0:1]
	v_subrev_u32_e32 v6, s45, v5
	v_cmp_le_u32_e64 s[0:1], s45, v5
	v_cndmask_b32_e64 v5, v5, v6, s[0:1]
	v_xor_b32_e32 v5, v5, v4
	v_sub_u32_e32 v18, v5, v4
	v_add_u32_e32 v4, v20, v18
	v_ashrrev_i32_e32 v5, 31, v4
	s_mov_b64 s[0:1], -1
                                        ; implicit-def: $vgpr8
	s_and_saveexec_b64 s[8:9], vcc
	s_cbranch_execz .LBB0_22
; %bb.15:
	v_lshlrev_b64 v[6:7], 2, v[4:5]
	v_mov_b32_e32 v8, s31
	v_add_co_u32_e32 v23, vcc, s30, v6
	v_addc_co_u32_e32 v24, vcc, v8, v7, vcc
	global_load_dword v8, v[23:24], off
	s_waitcnt vmcnt(0)
	v_cmp_ne_u32_e32 vcc, 0, v8
	v_cmp_eq_u32_e64 s[0:1], 0, v8
                                        ; implicit-def: $vgpr8
	s_and_saveexec_b64 s[16:17], s[0:1]
	s_cbranch_execz .LBB0_21
; %bb.16:
	v_mov_b32_e32 v8, s11
	v_add_co_u32_e64 v23, s[0:1], s10, v6
	v_addc_co_u32_e64 v24, s[0:1], v8, v7, s[0:1]
	global_load_dword v8, v[23:24], off
	s_waitcnt vmcnt(0)
	v_sub_f32_e32 v8, v8, v15
	v_cmp_nlt_f32_e64 s[18:19], 0, v8
	v_cmp_lt_f32_e64 s[0:1], 0, v8
	s_and_saveexec_b64 s[20:21], s[0:1]
	s_cbranch_execz .LBB0_20
; %bb.17:
	v_mov_b32_e32 v20, s13
	v_add_co_u32_e64 v23, s[0:1], s12, v6
	v_addc_co_u32_e64 v24, s[0:1], v20, v7, s[0:1]
	global_load_dword v20, v[23:24], off
	s_waitcnt vmcnt(0)
	v_cmp_ngt_f32_e64 s[22:23], v20, v12
	v_cmp_gt_f32_e64 s[0:1], v20, v12
	s_and_saveexec_b64 s[34:35], s[0:1]
	s_cbranch_execz .LBB0_19
; %bb.18:
	v_mov_b32_e32 v20, s15
	v_add_co_u32_e64 v6, s[0:1], s14, v6
	v_addc_co_u32_e64 v7, s[0:1], v20, v7, s[0:1]
	global_load_dword v6, v[6:7], off
	s_andn2_b64 s[22:23], s[22:23], exec
	s_waitcnt vmcnt(0)
	v_cmp_ngt_f32_e64 s[0:1], v6, v12
	s_and_b64 s[0:1], s[0:1], exec
	s_or_b64 s[22:23], s[22:23], s[0:1]
.LBB0_19:
	s_or_b64 exec, exec, s[34:35]
	s_andn2_b64 s[0:1], s[18:19], exec
	s_and_b64 s[18:19], s[22:23], exec
	s_or_b64 s[18:19], s[0:1], s[18:19]
.LBB0_20:
	s_or_b64 exec, exec, s[20:21]
	s_andn2_b64 s[0:1], vcc, exec
	s_and_b64 s[18:19], s[18:19], exec
	s_or_b64 vcc, s[0:1], s[18:19]
.LBB0_21:
	s_or_b64 exec, exec, s[16:17]
	s_orn2_b64 s[0:1], vcc, exec
.LBB0_22:
	s_or_b64 exec, exec, s[8:9]
	v_ashrrev_i32_e32 v6, 31, v19
	s_and_saveexec_b64 s[8:9], s[0:1]
	s_cbranch_execz .LBB0_24
; %bb.23:
	v_lshlrev_b64 v[4:5], 2, v[4:5]
	v_mov_b32_e32 v7, s11
	v_add_co_u32_e32 v4, vcc, s10, v4
	v_addc_co_u32_e32 v5, vcc, v7, v5, vcc
	global_load_dword v8, v[4:5], off
.LBB0_24:
	s_or_b64 exec, exec, s[8:9]
	v_mul_lo_u32 v4, v9, s44
	v_cmp_ne_u32_e64 s[0:1], s43, v22
	s_mov_b64 s[18:19], 0
	v_sub_u32_e32 v4, v21, v4
	v_subrev_u32_e32 v5, s44, v4
	v_cmp_le_u32_e32 vcc, s44, v4
	v_cndmask_b32_e32 v4, v4, v5, vcc
	v_subrev_u32_e32 v5, s44, v4
	v_cmp_le_u32_e32 vcc, s44, v4
	v_cndmask_b32_e32 v4, v4, v5, vcc
	v_xor_b32_e32 v4, v4, v6
	v_sub_u32_e32 v20, v4, v6
	v_mul_lo_u32 v19, v20, s26
	s_waitcnt lgkmcnt(0)
	v_mov_b32_e32 v6, s3
	v_add_u32_e32 v4, v19, v16
	v_ashrrev_i32_e32 v5, 31, v4
	v_lshlrev_b64 v[4:5], 2, v[4:5]
	v_add_co_u32_e32 v4, vcc, s2, v4
	v_addc_co_u32_e32 v5, vcc, v6, v5, vcc
	global_load_dword v9, v[4:5], off
	v_cmp_eq_u32_e32 vcc, s43, v22
	s_mov_b64 s[2:3], 0
                                        ; implicit-def: $vgpr4_vgpr5
	s_and_saveexec_b64 s[8:9], s[0:1]
	s_xor_b64 s[8:9], exec, s[8:9]
	s_cbranch_execnz .LBB0_71
; %bb.25:
	s_or_saveexec_b64 s[20:21], s[8:9]
	s_load_dwordx2 s[16:17], s[4:5], 0x28
	s_xor_b64 exec, exec, s[20:21]
	s_cbranch_execnz .LBB0_72
.LBB0_26:
	s_or_b64 exec, exec, s[20:21]
                                        ; implicit-def: $vgpr16
	s_and_saveexec_b64 s[8:9], s[18:19]
	s_cbranch_execnz .LBB0_79
.LBB0_27:
	s_or_b64 exec, exec, s[8:9]
	s_and_saveexec_b64 s[8:9], s[2:3]
	s_cbranch_execz .LBB0_29
.LBB0_28:
	v_lshlrev_b64 v[4:5], 2, v[4:5]
	s_waitcnt lgkmcnt(0)
	v_mov_b32_e32 v6, s17
	v_add_co_u32_e64 v4, s[0:1], s16, v4
	v_addc_co_u32_e64 v5, s[0:1], v6, v5, s[0:1]
	global_load_dword v4, v[4:5], off offset:-4
	s_waitcnt vmcnt(0)
	v_add_f32_e32 v16, v12, v4
.LBB0_29:
	s_or_b64 exec, exec, s[8:9]
	v_add_u32_e32 v4, v17, v18
	v_ashrrev_i32_e32 v5, 31, v4
	s_mov_b64 s[0:1], -1
                                        ; implicit-def: $vgpr17
	s_and_saveexec_b64 s[2:3], vcc
	s_cbranch_execz .LBB0_37
; %bb.30:
	v_lshlrev_b64 v[6:7], 2, v[4:5]
	v_mov_b32_e32 v17, s31
	v_add_co_u32_e32 v21, vcc, s30, v6
	v_addc_co_u32_e32 v22, vcc, v17, v7, vcc
	global_load_dword v17, v[21:22], off
	s_waitcnt vmcnt(0)
	v_cmp_ne_u32_e32 vcc, 0, v17
	v_cmp_eq_u32_e64 s[0:1], 0, v17
                                        ; implicit-def: $vgpr17
	s_and_saveexec_b64 s[8:9], s[0:1]
	s_cbranch_execz .LBB0_36
; %bb.31:
	v_mov_b32_e32 v17, s11
	v_add_co_u32_e64 v21, s[0:1], s10, v6
	v_addc_co_u32_e64 v22, s[0:1], v17, v7, s[0:1]
	global_load_dword v17, v[21:22], off
	s_waitcnt vmcnt(0) lgkmcnt(0)
	v_cmp_ngt_f32_e64 s[16:17], v17, v15
	v_cmp_gt_f32_e64 s[0:1], v17, v15
                                        ; implicit-def: $vgpr17
	s_and_saveexec_b64 s[18:19], s[0:1]
	s_cbranch_execz .LBB0_35
; %bb.32:
	v_mov_b32_e32 v17, s13
	v_add_co_u32_e64 v21, s[0:1], s12, v6
	v_addc_co_u32_e64 v22, s[0:1], v17, v7, s[0:1]
	global_load_dword v17, v[21:22], off
	s_waitcnt vmcnt(0)
	v_sub_f32_e32 v17, v17, v12
	v_cmp_nlt_f32_e64 s[20:21], 0, v17
	v_cmp_lt_f32_e64 s[0:1], 0, v17
	s_and_saveexec_b64 s[22:23], s[0:1]
	s_cbranch_execz .LBB0_34
; %bb.33:
	v_mov_b32_e32 v21, s15
	v_add_co_u32_e64 v6, s[0:1], s14, v6
	v_addc_co_u32_e64 v7, s[0:1], v21, v7, s[0:1]
	global_load_dword v6, v[6:7], off
	s_andn2_b64 s[20:21], s[20:21], exec
	s_waitcnt vmcnt(0)
	v_cmp_ngt_f32_e64 s[0:1], v6, v12
	s_and_b64 s[0:1], s[0:1], exec
	s_or_b64 s[20:21], s[20:21], s[0:1]
.LBB0_34:
	s_or_b64 exec, exec, s[22:23]
	s_andn2_b64 s[0:1], s[16:17], exec
	s_and_b64 s[16:17], s[20:21], exec
	s_or_b64 s[16:17], s[0:1], s[16:17]
.LBB0_35:
	s_or_b64 exec, exec, s[18:19]
	s_andn2_b64 s[0:1], vcc, exec
	s_and_b64 s[16:17], s[16:17], exec
	s_or_b64 vcc, s[0:1], s[16:17]
.LBB0_36:
	s_or_b64 exec, exec, s[8:9]
	s_orn2_b64 s[0:1], vcc, exec
.LBB0_37:
	s_or_b64 exec, exec, s[2:3]
	s_and_saveexec_b64 s[2:3], s[0:1]
	s_cbranch_execz .LBB0_39
; %bb.38:
	v_lshlrev_b64 v[4:5], 2, v[4:5]
	v_mov_b32_e32 v6, s13
	v_add_co_u32_e32 v4, vcc, s12, v4
	v_addc_co_u32_e32 v5, vcc, v6, v5, vcc
	global_load_dword v17, v[4:5], off
.LBB0_39:
	s_or_b64 exec, exec, s[2:3]
	v_add_u32_e32 v4, v18, v19
	v_cmp_ne_u32_e32 vcc, s43, v20
	v_cmp_eq_u32_e64 s[0:1], s43, v20
	v_ashrrev_i32_e32 v5, 31, v4
	s_mov_b64 s[2:3], -1
                                        ; implicit-def: $vgpr18
	s_and_saveexec_b64 s[8:9], s[0:1]
	s_cbranch_execz .LBB0_47
; %bb.40:
	v_lshlrev_b64 v[6:7], 2, v[4:5]
	v_mov_b32_e32 v18, s31
	v_add_co_u32_e64 v20, s[0:1], s30, v6
	v_addc_co_u32_e64 v21, s[0:1], v18, v7, s[0:1]
	global_load_dword v18, v[20:21], off
	s_waitcnt vmcnt(0)
	v_cmp_ne_u32_e64 s[0:1], 0, v18
	v_cmp_eq_u32_e64 s[2:3], 0, v18
                                        ; implicit-def: $vgpr18
	s_waitcnt lgkmcnt(0)
	s_and_saveexec_b64 s[16:17], s[2:3]
	s_cbranch_execz .LBB0_46
; %bb.41:
	v_mov_b32_e32 v18, s11
	v_add_co_u32_e64 v20, s[2:3], s10, v6
	v_addc_co_u32_e64 v21, s[2:3], v18, v7, s[2:3]
	global_load_dword v18, v[20:21], off
	s_waitcnt vmcnt(0)
	v_cmp_ngt_f32_e64 s[18:19], v18, v15
	v_cmp_gt_f32_e64 s[2:3], v18, v15
                                        ; implicit-def: $vgpr18
	s_and_saveexec_b64 s[20:21], s[2:3]
	s_cbranch_execz .LBB0_45
; %bb.42:
	v_mov_b32_e32 v18, s13
	v_add_co_u32_e64 v20, s[2:3], s12, v6
	v_addc_co_u32_e64 v21, s[2:3], v18, v7, s[2:3]
	global_load_dword v18, v[20:21], off
	s_waitcnt vmcnt(0)
	v_cmp_ngt_f32_e64 s[22:23], v18, v12
	v_cmp_gt_f32_e64 s[2:3], v18, v12
                                        ; implicit-def: $vgpr18
	s_and_saveexec_b64 s[26:27], s[2:3]
	s_cbranch_execz .LBB0_44
; %bb.43:
	v_mov_b32_e32 v18, s15
	v_add_co_u32_e64 v6, s[2:3], s14, v6
	v_addc_co_u32_e64 v7, s[2:3], v18, v7, s[2:3]
	global_load_dword v6, v[6:7], off
	s_andn2_b64 s[22:23], s[22:23], exec
	s_waitcnt vmcnt(0)
	v_sub_f32_e32 v18, v6, v12
	v_cmp_nlt_f32_e64 s[2:3], 0, v18
	s_and_b64 s[2:3], s[2:3], exec
	s_or_b64 s[22:23], s[22:23], s[2:3]
.LBB0_44:
	s_or_b64 exec, exec, s[26:27]
	s_andn2_b64 s[2:3], s[18:19], exec
	s_and_b64 s[18:19], s[22:23], exec
	s_or_b64 s[18:19], s[2:3], s[18:19]
.LBB0_45:
	s_or_b64 exec, exec, s[20:21]
	s_andn2_b64 s[0:1], s[0:1], exec
	s_and_b64 s[2:3], s[18:19], exec
	s_or_b64 s[0:1], s[0:1], s[2:3]
.LBB0_46:
	s_or_b64 exec, exec, s[16:17]
	s_orn2_b64 s[2:3], s[0:1], exec
.LBB0_47:
	s_or_b64 exec, exec, s[8:9]
	s_and_saveexec_b64 s[8:9], s[2:3]
	s_cbranch_execz .LBB0_49
; %bb.48:
	v_lshlrev_b64 v[4:5], 2, v[4:5]
	v_mov_b32_e32 v6, s15
	v_add_co_u32_e64 v4, s[0:1], s14, v4
	v_addc_co_u32_e64 v5, s[0:1], v6, v5, s[0:1]
	global_load_dword v18, v[4:5], off
.LBB0_49:
	s_or_b64 exec, exec, s[8:9]
	s_mov_b64 s[0:1], 0
	s_mov_b64 s[34:35], 0
                                        ; implicit-def: $vgpr4_vgpr5
	s_and_saveexec_b64 s[2:3], vcc
	s_xor_b64 s[2:3], exec, s[2:3]
; %bb.50:
	v_ashrrev_i32_e32 v5, 31, v19
	v_ashrrev_i32_e32 v6, 31, v14
	v_add_co_u32_e32 v4, vcc, v14, v19
	s_mov_b64 s[34:35], exec
	v_addc_co_u32_e32 v5, vcc, v6, v5, vcc
                                        ; implicit-def: $vgpr19
                                        ; implicit-def: $vgpr14
                                        ; implicit-def: $vgpr15
; %bb.51:
	s_or_saveexec_b64 s[8:9], s[2:3]
	s_load_dwordx2 s[26:27], s[4:5], 0x40
	s_xor_b64 exec, exec, s[8:9]
	s_cbranch_execz .LBB0_59
; %bb.52:
	v_ashrrev_i32_e32 v5, 31, v19
	v_ashrrev_i32_e32 v6, 31, v14
	v_add_co_u32_e32 v4, vcc, v14, v19
	v_addc_co_u32_e32 v5, vcc, v6, v5, vcc
	v_lshlrev_b64 v[6:7], 2, v[4:5]
	v_mov_b32_e32 v14, s31
	v_add_co_u32_e32 v19, vcc, s30, v6
	v_addc_co_u32_e32 v20, vcc, v14, v7, vcc
	global_load_dword v14, v[19:20], off offset:-4
	s_mov_b64 s[2:3], 0
	s_waitcnt vmcnt(0)
	v_cmp_ne_u32_e32 vcc, 0, v14
	v_cmp_eq_u32_e64 s[0:1], 0, v14
	s_waitcnt lgkmcnt(0)
	s_and_saveexec_b64 s[16:17], s[0:1]
	s_cbranch_execz .LBB0_58
; %bb.53:
	v_mov_b32_e32 v14, s11
	v_add_co_u32_e64 v19, s[0:1], s10, v6
	v_addc_co_u32_e64 v20, s[0:1], v14, v7, s[0:1]
	global_load_dword v14, v[19:20], off offset:-4
	s_mov_b64 s[18:19], 0
	s_waitcnt vmcnt(0)
	v_cmp_ngt_f32_e64 s[0:1], v14, v15
	v_cmp_gt_f32_e64 s[2:3], v14, v15
	s_and_saveexec_b64 s[10:11], s[2:3]
	s_cbranch_execz .LBB0_57
; %bb.54:
	v_mov_b32_e32 v15, s13
	v_add_co_u32_e64 v14, s[2:3], s12, v6
	v_addc_co_u32_e64 v15, s[2:3], v15, v7, s[2:3]
	global_load_dword v14, v[14:15], off offset:-4
	s_waitcnt vmcnt(0)
	v_cmp_ngt_f32_e64 s[12:13], v14, v12
	v_cmp_gt_f32_e64 s[2:3], v14, v12
	s_and_saveexec_b64 s[20:21], s[2:3]
	s_cbranch_execz .LBB0_56
; %bb.55:
	v_mov_b32_e32 v14, s15
	v_add_co_u32_e64 v6, s[2:3], s14, v6
	v_addc_co_u32_e64 v7, s[2:3], v14, v7, s[2:3]
	global_load_dword v6, v[6:7], off offset:-4
	s_andn2_b64 s[12:13], s[12:13], exec
	s_mov_b64 s[18:19], exec
	s_waitcnt vmcnt(0)
	v_cmp_ngt_f32_e64 s[2:3], v6, v12
	s_and_b64 s[2:3], s[2:3], exec
	s_or_b64 s[12:13], s[12:13], s[2:3]
.LBB0_56:
	s_or_b64 exec, exec, s[20:21]
	s_andn2_b64 s[0:1], s[0:1], exec
	s_and_b64 s[2:3], s[12:13], exec
	s_and_b64 s[18:19], s[18:19], exec
	s_or_b64 s[0:1], s[0:1], s[2:3]
.LBB0_57:
	s_or_b64 exec, exec, s[10:11]
	s_andn2_b64 s[10:11], vcc, exec
	s_and_b64 s[0:1], s[0:1], exec
	s_and_b64 s[2:3], s[18:19], exec
	s_or_b64 vcc, s[10:11], s[0:1]
.LBB0_58:
	s_or_b64 exec, exec, s[16:17]
	s_and_b64 s[0:1], s[2:3], exec
	s_andn2_b64 s[2:3], s[34:35], exec
	s_and_b64 s[10:11], vcc, exec
	s_or_b64 s[34:35], s[2:3], s[10:11]
.LBB0_59:
	s_or_b64 exec, exec, s[8:9]
	s_load_dwordx8 s[8:15], s[4:5], 0x68
	s_waitcnt lgkmcnt(0)
	s_load_dwordx8 s[16:23], s[4:5], 0x48
	s_load_dwordx2 s[2:3], s[4:5], 0x88
	s_load_dword s24, s[4:5], 0xb8
                                        ; implicit-def: $vgpr6
	s_and_saveexec_b64 s[36:37], s[34:35]
	s_cbranch_execz .LBB0_61
; %bb.60:
	v_lshlrev_b64 v[6:7], 2, v[4:5]
	v_mov_b32_e32 v14, s27
	v_add_co_u32_e32 v6, vcc, s26, v6
	v_addc_co_u32_e32 v7, vcc, v14, v7, vcc
	global_load_dword v6, v[6:7], off offset:-4
	s_andn2_b64 s[0:1], s[0:1], exec
.LBB0_61:
	s_or_b64 exec, exec, s[36:37]
	s_and_saveexec_b64 s[34:35], s[0:1]
	s_cbranch_execz .LBB0_63
; %bb.62:
	v_lshlrev_b64 v[4:5], 2, v[4:5]
	s_waitcnt vmcnt(0)
	v_mov_b32_e32 v6, s27
	v_add_co_u32_e32 v4, vcc, s26, v4
	v_addc_co_u32_e32 v5, vcc, v6, v5, vcc
	global_load_dword v4, v[4:5], off offset:-4
	s_waitcnt vmcnt(0)
	v_add_f32_e32 v6, v12, v4
.LBB0_63:
	s_or_b64 exec, exec, s[34:35]
	s_waitcnt vmcnt(2)
	v_add_f32_e32 v4, v10, v11
	s_waitcnt vmcnt(1)
	v_add_f32_e32 v4, v4, v13
	v_add_f32_e32 v4, v4, v8
	s_waitcnt vmcnt(0)
	v_add_f32_e32 v4, v4, v9
	v_add_f32_e32 v4, v4, v16
	v_add_f32_e32 v4, v4, v17
	v_add_f32_e32 v4, v4, v18
	v_add_f32_e32 v4, v4, v6
	v_div_scale_f32 v5, s[0:1], v4, v4, 1.0
	v_div_scale_f32 v7, vcc, 1.0, v4, 1.0
	v_add_f32_e32 v14, v11, v16
	v_add_f32_e32 v15, v13, v16
	s_mov_b32 s26, 0xbf2aaaab
	v_rcp_f32_e32 v12, v5
	v_fma_f32 v19, -v5, v12, 1.0
	v_fmac_f32_e32 v12, v19, v12
	v_mul_f32_e32 v19, v7, v12
	v_fma_f32 v20, -v5, v19, v7
	v_fmac_f32_e32 v19, v20, v12
	v_fma_f32 v5, -v5, v19, v7
	v_div_fmas_f32 v5, v5, v12, v19
	v_mov_b32_e32 v7, s31
	v_add_f32_e32 v12, v14, v6
	v_add_co_u32_e32 v14, vcc, s30, v2
	v_add_f32_e32 v19, v15, v17
	v_addc_co_u32_e32 v15, vcc, v7, v3, vcc
	global_load_dword v14, v[14:15], off
	v_sub_f32_e32 v7, v12, v8
	v_sub_f32_e32 v12, v19, v9
	;; [unrolled: 1-line block ×6, first 2 shown]
	v_div_fixup_f32 v5, v5, v4, 1.0
	v_mul_f32_e32 v15, v5, v7
	v_mul_f32_e32 v19, v12, v5
	;; [unrolled: 1-line block ×3, first 2 shown]
	v_fma_f32 v21, v19, v19, v20
	v_div_scale_f32 v22, s[0:1], s26, s26, v21
	v_div_scale_f32 v23, vcc, v21, s26, v21
	s_mov_b32 s0, 0x40400000
	s_mov_b32 s1, 0xc0400000
	v_rcp_f32_e32 v24, v22
	v_fma_f32 v25, -v22, v24, 1.0
	v_fmac_f32_e32 v24, v25, v24
	v_mul_f32_e32 v25, v23, v24
	v_fma_f32 v26, -v22, v25, v23
	v_fmac_f32_e32 v25, v26, v24
	v_fma_f32 v22, -v22, v25, v23
	v_div_fmas_f32 v22, v22, v24, v25
	v_fma_f32 v24, v12, v5, v15
	v_fma_f32 v25, v12, v5, -v15
	v_fma_f32 v12, -v12, v5, -v15
	v_fma_f32 v5, v5, v7, -v19
	v_fma_f32 v7, v15, s0, 1.0
	v_fma_f32 v15, v15, s1, 1.0
	v_mul_f32_e32 v23, v19, v19
	v_fmac_f32_e32 v7, 0x40900000, v20
	v_fmac_f32_e32 v15, 0x40900000, v20
	v_fma_f32 v20, v19, s0, 1.0
	v_fma_f32 v19, v19, s1, 1.0
	v_fmac_f32_e32 v20, 0x40900000, v23
	v_fmac_f32_e32 v19, 0x40900000, v23
	v_fma_f32 v23, v24, s0, 1.0
	v_mul_f32_e32 v24, v24, v24
	v_fmac_f32_e32 v23, 0x40900000, v24
	v_fma_f32 v24, v25, s0, 1.0
	v_mul_f32_e32 v25, v25, v25
	;; [unrolled: 3-line block ×4, first 2 shown]
	v_fmac_f32_e32 v12, 0x40900000, v5
	v_div_fixup_f32 v5, v22, s26, v21
	v_mul_f32_e32 v26, 0x3de38e39, v4
	v_mul_f32_e32 v21, 0x3ce38e39, v4
	;; [unrolled: 1-line block ×3, first 2 shown]
	v_add_f32_e32 v7, v7, v5
	v_add_f32_e32 v20, v20, v5
	;; [unrolled: 1-line block ×8, first 2 shown]
	v_add_f32_e32 v5, 1.0, v5
	v_fma_f32 v4, v4, v5, -v10
	v_fma_f32 v5, v26, v7, -v11
	v_fma_f32 v12, s25, v4, v10
	s_waitcnt vmcnt(0)
	v_cmp_eq_u32_e64 s[0:1], 0, v14
	v_fma_f32 v4, s25, v5, v11
	v_fma_f32 v5, v26, v15, -v8
	v_cndmask_b32_e64 v28, v8, v4, s[0:1]
	v_fmac_f32_e32 v8, s25, v5
	v_fma_f32 v5, v26, v20, -v13
	v_fma_f32 v5, s25, v5, v13
	v_fma_f32 v7, v26, v19, -v9
	v_cndmask_b32_e64 v15, v9, v5, s[0:1]
	v_fmac_f32_e32 v9, s25, v7
	v_fma_f32 v7, v21, v22, -v16
	v_cndmask_b32_e64 v27, v10, v12, s[0:1]
	v_fma_f32 v7, s25, v7, v16
	v_fma_f32 v10, v21, v24, -v18
	v_cndmask_b32_e64 v20, v18, v7, s[0:1]
	v_fmac_f32_e32 v18, s25, v10
	v_fma_f32 v10, v21, v23, -v17
	v_cndmask_b32_e64 v19, v13, v9, s[0:1]
	v_fma_f32 v10, s25, v10, v17
	v_fma_f32 v13, v21, v25, -v6
	v_cndmask_b32_e64 v22, v6, v10, s[0:1]
	v_fmac_f32_e32 v6, s25, v13
	s_waitcnt lgkmcnt(0)
	v_mov_b32_e32 v14, s17
	v_add_co_u32_e32 v13, vcc, s16, v2
	v_addc_co_u32_e32 v14, vcc, v14, v3, vcc
	global_store_dword v[13:14], v27, off
	v_mov_b32_e32 v14, s19
	v_add_co_u32_e32 v13, vcc, s18, v2
	v_addc_co_u32_e32 v14, vcc, v14, v3, vcc
	global_store_dword v[13:14], v28, off
	;; [unrolled: 4-line block ×3, first 2 shown]
	v_mov_b32_e32 v14, s23
	v_add_co_u32_e32 v13, vcc, s22, v2
	v_cndmask_b32_e64 v11, v11, v8, s[0:1]
	v_addc_co_u32_e32 v14, vcc, v14, v3, vcc
	global_store_dword v[13:14], v11, off
	v_mov_b32_e32 v11, s9
	v_add_co_u32_e32 v13, vcc, s8, v2
	v_addc_co_u32_e32 v14, vcc, v11, v3, vcc
	global_store_dword v[13:14], v19, off
	v_mov_b32_e32 v11, s11
	v_add_co_u32_e32 v13, vcc, s10, v2
	;; [unrolled: 4-line block ×4, first 2 shown]
	v_addc_co_u32_e32 v14, vcc, v11, v3, vcc
	v_mov_b32_e32 v11, s3
	v_add_co_u32_e32 v2, vcc, s2, v2
	v_cndmask_b32_e64 v17, v17, v6, s[0:1]
	v_addc_co_u32_e32 v3, vcc, v11, v3, vcc
	v_cndmask_b32_e64 v16, v16, v18, s[0:1]
	global_store_dword v[2:3], v17, off
	v_mov_b32_e32 v2, 0
	global_store_dword v[13:14], v16, off
	s_and_saveexec_b64 s[2:3], s[0:1]
	s_cbranch_execz .LBB0_65
; %bb.64:
	v_add_f32_e32 v2, v12, v4
	v_add_f32_e32 v2, v5, v2
	;; [unrolled: 1-line block ×8, first 2 shown]
	v_div_scale_f32 v3, s[8:9], v2, v2, 1.0
	v_div_scale_f32 v11, vcc, 1.0, v2, 1.0
	v_add_f32_e32 v5, v5, v7
	v_add_f32_e32 v4, v4, v7
	;; [unrolled: 1-line block ×4, first 2 shown]
	v_sub_f32_e32 v5, v5, v9
	v_sub_f32_e32 v4, v4, v8
	;; [unrolled: 1-line block ×6, first 2 shown]
	s_mov_b32 s8, 0x7f800000
	v_rcp_f32_e32 v12, v3
	v_fma_f32 v13, -v3, v12, 1.0
	v_fmac_f32_e32 v12, v13, v12
	v_mul_f32_e32 v13, v11, v12
	v_fma_f32 v14, -v3, v13, v11
	v_fmac_f32_e32 v13, v14, v12
	v_fma_f32 v3, -v3, v13, v11
	v_div_fmas_f32 v3, v3, v12, v13
	v_div_fixup_f32 v2, v3, v2, 1.0
	v_mul_f32_e32 v5, v5, v2
	v_mul_f32_e32 v4, v4, v2
	v_max_f32_e64 v6, |v4|, |v5|
	v_cvt_f64_f32_e32 v[2:3], v6
	v_cmp_neq_f32_e32 vcc, s8, v6
	v_frexp_exp_i32_f64_e32 v2, v[2:3]
	v_sub_u32_e32 v3, 0, v2
	v_ldexp_f32 v4, |v4|, v3
	v_ldexp_f32 v3, |v5|, v3
	v_mul_f32_e32 v3, v3, v3
	v_fmac_f32_e32 v3, v4, v4
	v_sqrt_f32_e32 v3, v3
	v_mov_b32_e32 v4, 0x7f800000
	v_ldexp_f32 v2, v3, v2
	v_cndmask_b32_e32 v2, v4, v2, vcc
.LBB0_65:
	s_or_b64 exec, exec, s[2:3]
	v_mul_u32_u24_e32 v3, s42, v1
	v_add_lshl_u32 v3, v3, v0, 2
	v_or_b32_e32 v0, v0, v1
	v_cndmask_b32_e64 v4, 0, 1, s[0:1]
	v_cmp_eq_u32_e32 vcc, 0, v0
	ds_write2st64_b32 v3, v4, v2 offset1:2
	s_waitcnt vmcnt(0) lgkmcnt(0)
	s_barrier
	s_and_saveexec_b64 s[0:1], vcc
	s_cbranch_execz .LBB0_85
; %bb.66:
	s_load_dwordx4 s[0:3], s[4:5], 0x98
	s_mul_i32 s33, s33, s42
	s_cmp_eq_u32 s33, 0
	s_mov_b32 s4, 0
	s_cbranch_scc1 .LBB0_80
; %bb.67:
	s_cmp_lt_u32 s33, 8
	s_cbranch_scc1 .LBB0_81
; %bb.68:
	s_and_b32 s4, s33, 0x7ffffff8
	s_mov_b32 s5, 0
	v_mov_b32_e32 v1, 0
	v_mov_b32_e32 v0, 0
	s_mov_b32 s8, 0
.LBB0_69:                               ; =>This Inner Loop Header: Depth=1
	v_mov_b32_e32 v14, s5
	ds_read_b128 v[2:5], v14 offset:512
	ds_read_b128 v[6:9], v14
	ds_read_b128 v[10:13], v14 offset:16
	ds_read_b128 v[14:17], v14 offset:528
	s_add_i32 s8, s8, 8
	s_waitcnt lgkmcnt(0)
	v_add_f32_e32 v1, v1, v2
	v_add_u32_e32 v0, v6, v0
	v_add_f32_e32 v1, v1, v3
	v_add_u32_e32 v0, v7, v0
	;; [unrolled: 2-line block ×6, first 2 shown]
	s_add_i32 s5, s5, 32
	v_add_f32_e32 v1, v1, v16
	v_add_u32_e32 v0, v12, v0
	s_cmp_eq_u32 s4, s8
	v_add_f32_e32 v1, v1, v17
	v_add_u32_e32 v0, v13, v0
	s_cbranch_scc0 .LBB0_69
; %bb.70:
	s_and_b32 s5, s33, 7
	s_cmp_eq_u32 s5, 0
	s_cbranch_scc0 .LBB0_82
	s_branch .LBB0_84
.LBB0_71:
	v_ashrrev_i32_e32 v5, 31, v17
	v_ashrrev_i32_e32 v6, 31, v14
	v_add_co_u32_e64 v4, s[0:1], v17, v14
	s_mov_b64 s[18:19], exec
	v_addc_co_u32_e64 v5, s[0:1], v5, v6, s[0:1]
	s_or_saveexec_b64 s[20:21], s[8:9]
	s_load_dwordx2 s[16:17], s[4:5], 0x28
	s_xor_b64 exec, exec, s[20:21]
	s_cbranch_execz .LBB0_26
.LBB0_72:
	v_ashrrev_i32_e32 v5, 31, v17
	v_ashrrev_i32_e32 v6, 31, v14
	v_add_co_u32_e64 v4, s[0:1], v17, v14
	v_addc_co_u32_e64 v5, s[0:1], v5, v6, s[0:1]
	v_lshlrev_b64 v[6:7], 2, v[4:5]
	v_mov_b32_e32 v16, s31
	v_add_co_u32_e64 v21, s[0:1], s30, v6
	v_addc_co_u32_e64 v22, s[0:1], v16, v7, s[0:1]
	global_load_dword v16, v[21:22], off offset:-4
	s_mov_b64 s[8:9], 0
	s_waitcnt vmcnt(0)
	v_cmp_ne_u32_e64 s[0:1], 0, v16
	v_cmp_eq_u32_e64 s[2:3], 0, v16
	s_and_saveexec_b64 s[22:23], s[2:3]
	s_cbranch_execz .LBB0_78
; %bb.73:
	v_mov_b32_e32 v16, s11
	v_add_co_u32_e64 v21, s[2:3], s10, v6
	v_addc_co_u32_e64 v22, s[2:3], v16, v7, s[2:3]
	global_load_dword v16, v[21:22], off offset:-4
	s_mov_b64 s[36:37], 0
	s_waitcnt vmcnt(0)
	v_cmp_ngt_f32_e64 s[2:3], v16, v15
	v_cmp_gt_f32_e64 s[8:9], v16, v15
	s_and_saveexec_b64 s[26:27], s[8:9]
	s_cbranch_execz .LBB0_77
; %bb.74:
	v_mov_b32_e32 v16, s13
	v_add_co_u32_e64 v21, s[8:9], s12, v6
	v_addc_co_u32_e64 v22, s[8:9], v16, v7, s[8:9]
	global_load_dword v16, v[21:22], off offset:-4
	s_waitcnt vmcnt(0)
	v_cmp_ngt_f32_e64 s[34:35], v16, v12
	v_cmp_gt_f32_e64 s[8:9], v16, v12
	s_and_saveexec_b64 s[38:39], s[8:9]
	s_cbranch_execz .LBB0_76
; %bb.75:
	v_mov_b32_e32 v16, s15
	v_add_co_u32_e64 v6, s[8:9], s14, v6
	v_addc_co_u32_e64 v7, s[8:9], v16, v7, s[8:9]
	global_load_dword v6, v[6:7], off offset:-4
	s_andn2_b64 s[34:35], s[34:35], exec
	s_mov_b64 s[36:37], exec
	s_waitcnt vmcnt(0)
	v_cmp_ngt_f32_e64 s[8:9], v6, v12
	s_and_b64 s[8:9], s[8:9], exec
	s_or_b64 s[34:35], s[34:35], s[8:9]
.LBB0_76:
	s_or_b64 exec, exec, s[38:39]
	s_andn2_b64 s[2:3], s[2:3], exec
	s_and_b64 s[8:9], s[34:35], exec
	s_and_b64 s[36:37], s[36:37], exec
	s_or_b64 s[2:3], s[2:3], s[8:9]
.LBB0_77:
	s_or_b64 exec, exec, s[26:27]
	s_andn2_b64 s[0:1], s[0:1], exec
	s_and_b64 s[2:3], s[2:3], exec
	s_and_b64 s[8:9], s[36:37], exec
	s_or_b64 s[0:1], s[0:1], s[2:3]
.LBB0_78:
	s_or_b64 exec, exec, s[22:23]
	s_and_b64 s[2:3], s[8:9], exec
	s_andn2_b64 s[8:9], s[18:19], exec
	s_and_b64 s[0:1], s[0:1], exec
	s_or_b64 s[18:19], s[8:9], s[0:1]
	s_or_b64 exec, exec, s[20:21]
                                        ; implicit-def: $vgpr16
	s_and_saveexec_b64 s[8:9], s[18:19]
	s_cbranch_execz .LBB0_27
.LBB0_79:
	v_lshlrev_b64 v[6:7], 2, v[4:5]
	s_waitcnt lgkmcnt(0)
	v_mov_b32_e32 v16, s17
	v_add_co_u32_e64 v6, s[0:1], s16, v6
	v_addc_co_u32_e64 v7, s[0:1], v16, v7, s[0:1]
	global_load_dword v16, v[6:7], off offset:-4
	s_andn2_b64 s[2:3], s[2:3], exec
	s_or_b64 exec, exec, s[8:9]
	s_and_saveexec_b64 s[8:9], s[2:3]
	s_cbranch_execnz .LBB0_28
	s_branch .LBB0_29
.LBB0_80:
	v_mov_b32_e32 v1, 0
	v_mov_b32_e32 v0, 0
	s_branch .LBB0_84
.LBB0_81:
	v_mov_b32_e32 v1, 0
	v_mov_b32_e32 v0, 0
	s_and_b32 s5, s33, 7
	s_cmp_eq_u32 s5, 0
	s_cbranch_scc1 .LBB0_84
.LBB0_82:
	s_lshl_b32 s4, s4, 2
.LBB0_83:                               ; =>This Inner Loop Header: Depth=1
	v_mov_b32_e32 v2, s4
	ds_read2st64_b32 v[2:3], v2 offset1:2
	s_add_i32 s4, s4, 4
	s_add_i32 s5, s5, -1
	s_cmp_lg_u32 s5, 0
	s_waitcnt lgkmcnt(0)
	v_add_f32_e32 v1, v1, v3
	v_add_u32_e32 v0, v2, v0
	s_cbranch_scc1 .LBB0_83
.LBB0_84:
	s_mul_i32 s4, s29, s24
	s_add_i32 s4, s4, s7
	s_mul_i32 s4, s4, s28
	s_add_i32 s4, s4, s6
	s_ashr_i32 s5, s4, 31
	s_lshl_b64 s[4:5], s[4:5], 2
	s_waitcnt lgkmcnt(0)
	s_add_u32 s0, s0, s4
	s_addc_u32 s1, s1, s5
	v_mov_b32_e32 v2, 0
	global_store_dword v2, v1, s[0:1]
	s_add_u32 s0, s2, s4
	s_addc_u32 s1, s3, s5
	global_store_dword v2, v0, s[0:1]
.LBB0_85:
	s_endpgm
	.section	.rodata,"a",@progbits
	.p2align	6, 0x0
	.amdhsa_kernel _Z8d2q9_bgkPKfS0_S0_S0_S0_S0_S0_S0_S0_PfS1_S1_S1_S1_S1_S1_S1_S1_PKiS1_Piffiii
		.amdhsa_group_segment_fixed_size 1024
		.amdhsa_private_segment_fixed_size 0
		.amdhsa_kernarg_size 448
		.amdhsa_user_sgpr_count 6
		.amdhsa_user_sgpr_private_segment_buffer 1
		.amdhsa_user_sgpr_dispatch_ptr 0
		.amdhsa_user_sgpr_queue_ptr 0
		.amdhsa_user_sgpr_kernarg_segment_ptr 1
		.amdhsa_user_sgpr_dispatch_id 0
		.amdhsa_user_sgpr_flat_scratch_init 0
		.amdhsa_user_sgpr_private_segment_size 0
		.amdhsa_uses_dynamic_stack 0
		.amdhsa_system_sgpr_private_segment_wavefront_offset 0
		.amdhsa_system_sgpr_workgroup_id_x 1
		.amdhsa_system_sgpr_workgroup_id_y 1
		.amdhsa_system_sgpr_workgroup_id_z 0
		.amdhsa_system_sgpr_workgroup_info 0
		.amdhsa_system_vgpr_workitem_id 1
		.amdhsa_next_free_vgpr 29
		.amdhsa_next_free_sgpr 46
		.amdhsa_reserve_vcc 1
		.amdhsa_reserve_flat_scratch 0
		.amdhsa_float_round_mode_32 0
		.amdhsa_float_round_mode_16_64 0
		.amdhsa_float_denorm_mode_32 3
		.amdhsa_float_denorm_mode_16_64 3
		.amdhsa_dx10_clamp 1
		.amdhsa_ieee_mode 1
		.amdhsa_fp16_overflow 0
		.amdhsa_exception_fp_ieee_invalid_op 0
		.amdhsa_exception_fp_denorm_src 0
		.amdhsa_exception_fp_ieee_div_zero 0
		.amdhsa_exception_fp_ieee_overflow 0
		.amdhsa_exception_fp_ieee_underflow 0
		.amdhsa_exception_fp_ieee_inexact 0
		.amdhsa_exception_int_div_zero 0
	.end_amdhsa_kernel
	.text
.Lfunc_end0:
	.size	_Z8d2q9_bgkPKfS0_S0_S0_S0_S0_S0_S0_S0_PfS1_S1_S1_S1_S1_S1_S1_S1_PKiS1_Piffiii, .Lfunc_end0-_Z8d2q9_bgkPKfS0_S0_S0_S0_S0_S0_S0_S0_PfS1_S1_S1_S1_S1_S1_S1_S1_PKiS1_Piffiii
                                        ; -- End function
	.set _Z8d2q9_bgkPKfS0_S0_S0_S0_S0_S0_S0_S0_PfS1_S1_S1_S1_S1_S1_S1_S1_PKiS1_Piffiii.num_vgpr, 29
	.set _Z8d2q9_bgkPKfS0_S0_S0_S0_S0_S0_S0_S0_PfS1_S1_S1_S1_S1_S1_S1_S1_PKiS1_Piffiii.num_agpr, 0
	.set _Z8d2q9_bgkPKfS0_S0_S0_S0_S0_S0_S0_S0_PfS1_S1_S1_S1_S1_S1_S1_S1_PKiS1_Piffiii.numbered_sgpr, 46
	.set _Z8d2q9_bgkPKfS0_S0_S0_S0_S0_S0_S0_S0_PfS1_S1_S1_S1_S1_S1_S1_S1_PKiS1_Piffiii.num_named_barrier, 0
	.set _Z8d2q9_bgkPKfS0_S0_S0_S0_S0_S0_S0_S0_PfS1_S1_S1_S1_S1_S1_S1_S1_PKiS1_Piffiii.private_seg_size, 0
	.set _Z8d2q9_bgkPKfS0_S0_S0_S0_S0_S0_S0_S0_PfS1_S1_S1_S1_S1_S1_S1_S1_PKiS1_Piffiii.uses_vcc, 1
	.set _Z8d2q9_bgkPKfS0_S0_S0_S0_S0_S0_S0_S0_PfS1_S1_S1_S1_S1_S1_S1_S1_PKiS1_Piffiii.uses_flat_scratch, 0
	.set _Z8d2q9_bgkPKfS0_S0_S0_S0_S0_S0_S0_S0_PfS1_S1_S1_S1_S1_S1_S1_S1_PKiS1_Piffiii.has_dyn_sized_stack, 0
	.set _Z8d2q9_bgkPKfS0_S0_S0_S0_S0_S0_S0_S0_PfS1_S1_S1_S1_S1_S1_S1_S1_PKiS1_Piffiii.has_recursion, 0
	.set _Z8d2q9_bgkPKfS0_S0_S0_S0_S0_S0_S0_S0_PfS1_S1_S1_S1_S1_S1_S1_S1_PKiS1_Piffiii.has_indirect_call, 0
	.section	.AMDGPU.csdata,"",@progbits
; Kernel info:
; codeLenInByte = 4732
; TotalNumSgprs: 50
; NumVgprs: 29
; ScratchSize: 0
; MemoryBound: 0
; FloatMode: 240
; IeeeMode: 1
; LDSByteSize: 1024 bytes/workgroup (compile time only)
; SGPRBlocks: 6
; VGPRBlocks: 7
; NumSGPRsForWavesPerEU: 50
; NumVGPRsForWavesPerEU: 29
; Occupancy: 8
; WaveLimiterHint : 0
; COMPUTE_PGM_RSRC2:SCRATCH_EN: 0
; COMPUTE_PGM_RSRC2:USER_SGPR: 6
; COMPUTE_PGM_RSRC2:TRAP_HANDLER: 0
; COMPUTE_PGM_RSRC2:TGID_X_EN: 1
; COMPUTE_PGM_RSRC2:TGID_Y_EN: 1
; COMPUTE_PGM_RSRC2:TGID_Z_EN: 0
; COMPUTE_PGM_RSRC2:TIDIG_COMP_CNT: 1
	.section	.AMDGPU.gpr_maximums,"",@progbits
	.set amdgpu.max_num_vgpr, 0
	.set amdgpu.max_num_agpr, 0
	.set amdgpu.max_num_sgpr, 0
	.section	.AMDGPU.csdata,"",@progbits
	.type	__hip_cuid_30fe493a5162bd15,@object ; @__hip_cuid_30fe493a5162bd15
	.section	.bss,"aw",@nobits
	.globl	__hip_cuid_30fe493a5162bd15
__hip_cuid_30fe493a5162bd15:
	.byte	0                               ; 0x0
	.size	__hip_cuid_30fe493a5162bd15, 1

	.ident	"AMD clang version 22.0.0git (https://github.com/RadeonOpenCompute/llvm-project roc-7.2.4 26084 f58b06dce1f9c15707c5f808fd002e18c2accf7e)"
	.section	".note.GNU-stack","",@progbits
	.addrsig
	.addrsig_sym __hip_cuid_30fe493a5162bd15
	.amdgpu_metadata
---
amdhsa.kernels:
  - .args:
      - .actual_access:  read_only
        .address_space:  global
        .offset:         0
        .size:           8
        .value_kind:     global_buffer
      - .actual_access:  read_only
        .address_space:  global
        .offset:         8
        .size:           8
        .value_kind:     global_buffer
      - .actual_access:  read_only
        .address_space:  global
        .offset:         16
        .size:           8
        .value_kind:     global_buffer
      - .actual_access:  read_only
        .address_space:  global
        .offset:         24
        .size:           8
        .value_kind:     global_buffer
      - .actual_access:  read_only
        .address_space:  global
        .offset:         32
        .size:           8
        .value_kind:     global_buffer
      - .actual_access:  read_only
        .address_space:  global
        .offset:         40
        .size:           8
        .value_kind:     global_buffer
      - .actual_access:  read_only
        .address_space:  global
        .offset:         48
        .size:           8
        .value_kind:     global_buffer
      - .actual_access:  read_only
        .address_space:  global
        .offset:         56
        .size:           8
        .value_kind:     global_buffer
      - .actual_access:  read_only
        .address_space:  global
        .offset:         64
        .size:           8
        .value_kind:     global_buffer
      - .actual_access:  write_only
        .address_space:  global
        .offset:         72
        .size:           8
        .value_kind:     global_buffer
      - .actual_access:  write_only
        .address_space:  global
        .offset:         80
        .size:           8
        .value_kind:     global_buffer
      - .actual_access:  write_only
        .address_space:  global
        .offset:         88
        .size:           8
        .value_kind:     global_buffer
      - .actual_access:  write_only
        .address_space:  global
        .offset:         96
        .size:           8
        .value_kind:     global_buffer
      - .actual_access:  write_only
        .address_space:  global
        .offset:         104
        .size:           8
        .value_kind:     global_buffer
      - .actual_access:  write_only
        .address_space:  global
        .offset:         112
        .size:           8
        .value_kind:     global_buffer
      - .actual_access:  write_only
        .address_space:  global
        .offset:         120
        .size:           8
        .value_kind:     global_buffer
      - .actual_access:  write_only
        .address_space:  global
        .offset:         128
        .size:           8
        .value_kind:     global_buffer
      - .actual_access:  write_only
        .address_space:  global
        .offset:         136
        .size:           8
        .value_kind:     global_buffer
      - .actual_access:  read_only
        .address_space:  global
        .offset:         144
        .size:           8
        .value_kind:     global_buffer
      - .actual_access:  write_only
        .address_space:  global
        .offset:         152
        .size:           8
        .value_kind:     global_buffer
      - .actual_access:  write_only
        .address_space:  global
        .offset:         160
        .size:           8
        .value_kind:     global_buffer
      - .offset:         168
        .size:           4
        .value_kind:     by_value
      - .offset:         172
        .size:           4
        .value_kind:     by_value
      - .offset:         176
        .size:           4
        .value_kind:     by_value
      - .offset:         180
        .size:           4
        .value_kind:     by_value
      - .offset:         184
        .size:           4
        .value_kind:     by_value
      - .offset:         192
        .size:           4
        .value_kind:     hidden_block_count_x
      - .offset:         196
        .size:           4
        .value_kind:     hidden_block_count_y
      - .offset:         200
        .size:           4
        .value_kind:     hidden_block_count_z
      - .offset:         204
        .size:           2
        .value_kind:     hidden_group_size_x
      - .offset:         206
        .size:           2
        .value_kind:     hidden_group_size_y
      - .offset:         208
        .size:           2
        .value_kind:     hidden_group_size_z
      - .offset:         210
        .size:           2
        .value_kind:     hidden_remainder_x
      - .offset:         212
        .size:           2
        .value_kind:     hidden_remainder_y
      - .offset:         214
        .size:           2
        .value_kind:     hidden_remainder_z
      - .offset:         232
        .size:           8
        .value_kind:     hidden_global_offset_x
      - .offset:         240
        .size:           8
        .value_kind:     hidden_global_offset_y
      - .offset:         248
        .size:           8
        .value_kind:     hidden_global_offset_z
      - .offset:         256
        .size:           2
        .value_kind:     hidden_grid_dims
    .group_segment_fixed_size: 1024
    .kernarg_segment_align: 8
    .kernarg_segment_size: 448
    .language:       OpenCL C
    .language_version:
      - 2
      - 0
    .max_flat_workgroup_size: 1024
    .name:           _Z8d2q9_bgkPKfS0_S0_S0_S0_S0_S0_S0_S0_PfS1_S1_S1_S1_S1_S1_S1_S1_PKiS1_Piffiii
    .private_segment_fixed_size: 0
    .sgpr_count:     50
    .sgpr_spill_count: 0
    .symbol:         _Z8d2q9_bgkPKfS0_S0_S0_S0_S0_S0_S0_S0_PfS1_S1_S1_S1_S1_S1_S1_S1_PKiS1_Piffiii.kd
    .uniform_work_group_size: 1
    .uses_dynamic_stack: false
    .vgpr_count:     29
    .vgpr_spill_count: 0
    .wavefront_size: 64
amdhsa.target:   amdgcn-amd-amdhsa--gfx906
amdhsa.version:
  - 1
  - 2
...

	.end_amdgpu_metadata
